;; amdgpu-corpus repo=ROCm/rocFFT kind=compiled arch=gfx950 opt=O3
	.text
	.amdgcn_target "amdgcn-amd-amdhsa--gfx950"
	.amdhsa_code_object_version 6
	.protected	fft_rtc_fwd_len192_factors_6_4_4_2_wgs_128_tpt_16_halfLds_dp_ip_CI_unitstride_sbrr_C2R_dirReg ; -- Begin function fft_rtc_fwd_len192_factors_6_4_4_2_wgs_128_tpt_16_halfLds_dp_ip_CI_unitstride_sbrr_C2R_dirReg
	.globl	fft_rtc_fwd_len192_factors_6_4_4_2_wgs_128_tpt_16_halfLds_dp_ip_CI_unitstride_sbrr_C2R_dirReg
	.p2align	8
	.type	fft_rtc_fwd_len192_factors_6_4_4_2_wgs_128_tpt_16_halfLds_dp_ip_CI_unitstride_sbrr_C2R_dirReg,@function
fft_rtc_fwd_len192_factors_6_4_4_2_wgs_128_tpt_16_halfLds_dp_ip_CI_unitstride_sbrr_C2R_dirReg: ; @fft_rtc_fwd_len192_factors_6_4_4_2_wgs_128_tpt_16_halfLds_dp_ip_CI_unitstride_sbrr_C2R_dirReg
; %bb.0:
	s_load_dwordx2 s[8:9], s[0:1], 0x50
	s_load_dwordx4 s[4:7], s[0:1], 0x0
	s_load_dwordx2 s[10:11], s[0:1], 0x18
	v_lshrrev_b32_e32 v1, 4, v0
	v_lshl_or_b32 v6, s2, 3, v1
	v_mov_b32_e32 v4, 0
	s_waitcnt lgkmcnt(0)
	v_cmp_lt_u64_e64 s[2:3], s[6:7], 2
	v_mov_b32_e32 v7, v4
	s_and_b64 vcc, exec, s[2:3]
	v_mov_b64_e32 v[2:3], 0
	s_cbranch_vccnz .LBB0_8
; %bb.1:
	s_load_dwordx2 s[2:3], s[0:1], 0x10
	s_add_u32 s12, s10, 8
	s_addc_u32 s13, s11, 0
	s_mov_b64 s[14:15], 1
	v_mov_b64_e32 v[2:3], 0
	s_waitcnt lgkmcnt(0)
	s_add_u32 s16, s2, 8
	s_addc_u32 s17, s3, 0
.LBB0_2:                                ; =>This Inner Loop Header: Depth=1
	s_load_dwordx2 s[18:19], s[16:17], 0x0
                                        ; implicit-def: $vgpr8_vgpr9
	s_waitcnt lgkmcnt(0)
	v_or_b32_e32 v5, s19, v7
	v_cmp_ne_u64_e32 vcc, 0, v[4:5]
	s_and_saveexec_b64 s[2:3], vcc
	s_xor_b64 s[20:21], exec, s[2:3]
	s_cbranch_execz .LBB0_4
; %bb.3:                                ;   in Loop: Header=BB0_2 Depth=1
	v_cvt_f32_u32_e32 v5, s18
	v_cvt_f32_u32_e32 v8, s19
	s_sub_u32 s2, 0, s18
	s_subb_u32 s3, 0, s19
	v_fmac_f32_e32 v5, 0x4f800000, v8
	v_rcp_f32_e32 v5, v5
	s_nop 0
	v_mul_f32_e32 v5, 0x5f7ffffc, v5
	v_mul_f32_e32 v8, 0x2f800000, v5
	v_trunc_f32_e32 v8, v8
	v_fmac_f32_e32 v5, 0xcf800000, v8
	v_cvt_u32_f32_e32 v12, v8
	v_cvt_u32_f32_e32 v5, v5
	v_mul_lo_u32 v8, s2, v12
	v_mul_hi_u32 v10, s2, v5
	v_mul_lo_u32 v9, s3, v5
	v_add_u32_e32 v10, v10, v8
	v_mul_lo_u32 v13, s2, v5
	v_add_u32_e32 v14, v10, v9
	v_mul_hi_u32 v8, v5, v13
	v_mul_hi_u32 v11, v5, v14
	v_mul_lo_u32 v10, v5, v14
	v_mov_b32_e32 v9, v4
	v_lshl_add_u64 v[8:9], v[8:9], 0, v[10:11]
	v_mul_hi_u32 v11, v12, v13
	v_mul_lo_u32 v13, v12, v13
	v_add_co_u32_e32 v8, vcc, v8, v13
	v_mul_hi_u32 v10, v12, v14
	s_nop 0
	v_addc_co_u32_e32 v8, vcc, v9, v11, vcc
	v_mov_b32_e32 v9, v4
	s_nop 0
	v_addc_co_u32_e32 v11, vcc, 0, v10, vcc
	v_mul_lo_u32 v10, v12, v14
	v_lshl_add_u64 v[8:9], v[8:9], 0, v[10:11]
	v_add_co_u32_e32 v5, vcc, v5, v8
	v_mul_lo_u32 v10, s2, v5
	s_nop 0
	v_addc_co_u32_e32 v12, vcc, v12, v9, vcc
	v_mul_lo_u32 v8, s2, v12
	v_mul_hi_u32 v9, s2, v5
	v_add_u32_e32 v8, v9, v8
	v_mul_lo_u32 v9, s3, v5
	v_add_u32_e32 v13, v8, v9
	v_mul_hi_u32 v15, v12, v10
	v_mul_lo_u32 v16, v12, v10
	v_mul_hi_u32 v9, v5, v13
	v_mul_lo_u32 v8, v5, v13
	v_mul_hi_u32 v10, v5, v10
	v_mov_b32_e32 v11, v4
	v_lshl_add_u64 v[8:9], v[10:11], 0, v[8:9]
	v_add_co_u32_e32 v8, vcc, v8, v16
	v_mul_hi_u32 v14, v12, v13
	s_nop 0
	v_addc_co_u32_e32 v8, vcc, v9, v15, vcc
	v_mul_lo_u32 v10, v12, v13
	s_nop 0
	v_addc_co_u32_e32 v11, vcc, 0, v14, vcc
	v_mov_b32_e32 v9, v4
	v_lshl_add_u64 v[8:9], v[8:9], 0, v[10:11]
	v_add_co_u32_e32 v5, vcc, v5, v8
	v_mul_hi_u32 v10, v6, v5
	s_nop 0
	v_addc_co_u32_e32 v12, vcc, v12, v9, vcc
	v_mad_u64_u32 v[8:9], s[2:3], v6, v12, 0
	v_mov_b32_e32 v11, v4
	v_lshl_add_u64 v[8:9], v[10:11], 0, v[8:9]
	v_mad_u64_u32 v[10:11], s[2:3], v7, v12, 0
	v_mad_u64_u32 v[12:13], s[2:3], v7, v5, 0
	v_add_co_u32_e32 v5, vcc, v8, v12
	s_nop 1
	v_addc_co_u32_e32 v8, vcc, v9, v13, vcc
	v_mov_b32_e32 v9, v4
	s_nop 0
	v_addc_co_u32_e32 v11, vcc, 0, v11, vcc
	v_lshl_add_u64 v[8:9], v[8:9], 0, v[10:11]
	v_mul_lo_u32 v5, s19, v8
	v_mul_lo_u32 v12, s18, v9
	v_mad_u64_u32 v[10:11], s[2:3], s18, v8, 0
	v_add3_u32 v5, v11, v12, v5
	v_sub_u32_e32 v11, v7, v5
	v_mov_b32_e32 v12, s19
	v_sub_co_u32_e32 v14, vcc, v6, v10
	s_nop 1
	v_subb_co_u32_e64 v10, s[2:3], v11, v12, vcc
	v_subrev_co_u32_e64 v11, s[2:3], s18, v14
	v_subb_co_u32_e32 v5, vcc, v7, v5, vcc
	s_nop 0
	v_subbrev_co_u32_e64 v10, s[2:3], 0, v10, s[2:3]
	v_cmp_le_u32_e64 s[2:3], s19, v10
	v_cmp_le_u32_e32 vcc, s19, v5
	s_nop 0
	v_cndmask_b32_e64 v12, 0, -1, s[2:3]
	v_cmp_le_u32_e64 s[2:3], s18, v11
	s_nop 1
	v_cndmask_b32_e64 v11, 0, -1, s[2:3]
	v_cmp_eq_u32_e64 s[2:3], s19, v10
	s_nop 1
	v_cndmask_b32_e64 v15, v12, v11, s[2:3]
	v_lshl_add_u64 v[10:11], v[8:9], 0, 2
	v_lshl_add_u64 v[12:13], v[8:9], 0, 1
	v_cmp_ne_u32_e64 s[2:3], 0, v15
	s_nop 1
	v_cndmask_b32_e64 v11, v13, v11, s[2:3]
	v_cndmask_b32_e64 v13, 0, -1, vcc
	v_cmp_le_u32_e32 vcc, s18, v14
	s_nop 1
	v_cndmask_b32_e64 v14, 0, -1, vcc
	v_cmp_eq_u32_e32 vcc, s19, v5
	s_nop 1
	v_cndmask_b32_e32 v5, v13, v14, vcc
	v_cmp_ne_u32_e32 vcc, 0, v5
	v_cndmask_b32_e64 v5, v12, v10, s[2:3]
	s_nop 0
	v_cndmask_b32_e32 v9, v9, v11, vcc
	v_cndmask_b32_e32 v8, v8, v5, vcc
.LBB0_4:                                ;   in Loop: Header=BB0_2 Depth=1
	s_andn2_saveexec_b64 s[2:3], s[20:21]
	s_cbranch_execz .LBB0_6
; %bb.5:                                ;   in Loop: Header=BB0_2 Depth=1
	v_cvt_f32_u32_e32 v5, s18
	s_sub_i32 s20, 0, s18
	v_rcp_iflag_f32_e32 v5, v5
	s_nop 0
	v_mul_f32_e32 v5, 0x4f7ffffe, v5
	v_cvt_u32_f32_e32 v5, v5
	v_mul_lo_u32 v8, s20, v5
	v_mul_hi_u32 v8, v5, v8
	v_add_u32_e32 v5, v5, v8
	v_mul_hi_u32 v5, v6, v5
	v_mul_lo_u32 v8, v5, s18
	v_sub_u32_e32 v8, v6, v8
	v_add_u32_e32 v9, 1, v5
	v_subrev_u32_e32 v10, s18, v8
	v_cmp_le_u32_e32 vcc, s18, v8
	s_nop 1
	v_cndmask_b32_e32 v8, v8, v10, vcc
	v_cndmask_b32_e32 v5, v5, v9, vcc
	v_add_u32_e32 v9, 1, v5
	v_cmp_le_u32_e32 vcc, s18, v8
	s_nop 1
	v_cndmask_b32_e32 v8, v5, v9, vcc
	v_mov_b32_e32 v9, v4
.LBB0_6:                                ;   in Loop: Header=BB0_2 Depth=1
	s_or_b64 exec, exec, s[2:3]
	v_mad_u64_u32 v[10:11], s[2:3], v8, s18, 0
	s_load_dwordx2 s[2:3], s[12:13], 0x0
	v_mul_lo_u32 v5, v9, s18
	v_mul_lo_u32 v12, v8, s19
	v_add3_u32 v5, v11, v12, v5
	v_sub_co_u32_e32 v6, vcc, v6, v10
	s_add_u32 s14, s14, 1
	s_nop 0
	v_subb_co_u32_e32 v5, vcc, v7, v5, vcc
	s_addc_u32 s15, s15, 0
	s_waitcnt lgkmcnt(0)
	v_mul_lo_u32 v5, s2, v5
	v_mul_lo_u32 v7, s3, v6
	v_mad_u64_u32 v[2:3], s[2:3], s2, v6, v[2:3]
	s_add_u32 s12, s12, 8
	v_add3_u32 v3, v7, v3, v5
	s_addc_u32 s13, s13, 0
	v_mov_b64_e32 v[6:7], s[6:7]
	s_add_u32 s16, s16, 8
	v_cmp_ge_u64_e32 vcc, s[14:15], v[6:7]
	s_addc_u32 s17, s17, 0
	s_cbranch_vccnz .LBB0_9
; %bb.7:                                ;   in Loop: Header=BB0_2 Depth=1
	v_mov_b64_e32 v[6:7], v[8:9]
	s_branch .LBB0_2
.LBB0_8:
	v_mov_b64_e32 v[8:9], v[6:7]
.LBB0_9:
	s_lshl_b64 s[2:3], s[6:7], 3
	s_add_u32 s2, s10, s2
	s_addc_u32 s3, s11, s3
	s_load_dwordx2 s[6:7], s[2:3], 0x0
	s_load_dwordx2 s[10:11], s[0:1], 0x20
	s_waitcnt lgkmcnt(0)
	v_mul_lo_u32 v4, s6, v9
	v_mul_lo_u32 v5, s7, v8
	v_mad_u64_u32 v[6:7], s[0:1], s6, v8, v[2:3]
	v_add3_u32 v7, v5, v7, v4
	v_mul_u32_u24_e32 v2, 0xc1, v1
	v_and_b32_e32 v4, 15, v0
	v_cmp_gt_u64_e32 vcc, s[10:11], v[8:9]
	v_mov_b32_e32 v1, 0
	v_lshl_add_u64 v[12:13], v[6:7], 4, s[8:9]
	v_lshlrev_b32_e32 v21, 4, v2
	v_mov_b32_e32 v14, v4
	s_and_saveexec_b64 s[2:3], vcc
	s_cbranch_execz .LBB0_13
; %bb.10:
	v_lshlrev_b32_e32 v0, 4, v4
	v_lshl_add_u64 v[10:11], v[12:13], 0, v[0:1]
	global_load_dwordx4 v[6:9], v[10:11], off
	global_load_dwordx4 v[14:17], v[10:11], off offset:256
	global_load_dwordx4 v[22:25], v[10:11], off offset:512
	;; [unrolled: 1-line block ×11, first 2 shown]
	v_cmp_eq_u32_e64 s[0:1], 15, v4
	v_add3_u32 v3, 0, v21, v0
	v_mov_b64_e32 v[0:1], v[4:5]
	s_waitcnt vmcnt(11)
	ds_write_b128 v3, v[6:9]
	s_waitcnt vmcnt(10)
	ds_write_b128 v3, v[14:17] offset:256
	s_waitcnt vmcnt(9)
	ds_write_b128 v3, v[22:25] offset:512
	;; [unrolled: 2-line block ×11, first 2 shown]
	s_and_saveexec_b64 s[6:7], s[0:1]
	s_cbranch_execz .LBB0_12
; %bb.11:
	global_load_dwordx4 v[6:9], v[12:13], off offset:3072
	v_mov_b32_e32 v4, 15
	v_mov_b64_e32 v[0:1], 15
	s_waitcnt vmcnt(0)
	ds_write_b128 v3, v[6:9] offset:2832
.LBB0_12:
	s_or_b64 exec, exec, s[6:7]
	v_mov_b32_e32 v14, v4
	v_mov_b64_e32 v[4:5], v[0:1]
.LBB0_13:
	s_or_b64 exec, exec, s[2:3]
	v_lshl_add_u32 v15, v2, 4, 0
	v_lshlrev_b32_e32 v19, 4, v14
	v_add_u32_e32 v18, v15, v19
	s_waitcnt lgkmcnt(0)
	s_barrier
	v_sub_u32_e32 v10, v15, v19
	ds_read_b64 v[6:7], v18
	ds_read_b64 v[8:9], v10 offset:3072
	v_cmp_ne_u32_e64 s[0:1], 0, v14
	v_lshlrev_b32_e32 v20, 4, v4
	s_waitcnt lgkmcnt(0)
	v_add_f64 v[0:1], v[6:7], v[8:9]
	v_add_f64 v[2:3], v[6:7], -v[8:9]
	s_and_saveexec_b64 s[2:3], s[0:1]
	s_xor_b64 s[0:1], exec, s[2:3]
	s_cbranch_execz .LBB0_15
; %bb.14:
	global_load_dwordx4 v[22:25], v20, s[4:5] offset:2976
	ds_read_b64 v[0:1], v10 offset:3080
	ds_read_b64 v[2:3], v18 offset:8
	v_add_f64 v[4:5], v[6:7], v[8:9]
	v_add_f64 v[8:9], v[6:7], -v[8:9]
	s_waitcnt lgkmcnt(0)
	v_add_f64 v[16:17], v[0:1], v[2:3]
	v_add_f64 v[0:1], v[2:3], -v[0:1]
	s_waitcnt vmcnt(0)
	v_fma_f64 v[26:27], v[8:9], v[24:25], v[4:5]
	v_fma_f64 v[4:5], -v[8:9], v[24:25], v[4:5]
	v_fma_f64 v[6:7], v[16:17], v[24:25], -v[0:1]
	v_fma_f64 v[2:3], v[16:17], v[24:25], v[0:1]
	v_fmac_f64_e32 v[4:5], v[16:17], v[22:23]
	v_fmac_f64_e32 v[6:7], v[8:9], v[22:23]
	v_fma_f64 v[0:1], -v[16:17], v[22:23], v[26:27]
	v_fmac_f64_e32 v[2:3], v[8:9], v[22:23]
	ds_write_b128 v10, v[4:7] offset:3072
.LBB0_15:
	s_andn2_saveexec_b64 s[0:1], s[0:1]
	s_cbranch_execz .LBB0_17
; %bb.16:
	ds_read_b128 v[4:7], v15 offset:1536
	s_waitcnt lgkmcnt(0)
	v_add_f64 v[4:5], v[4:5], v[4:5]
	v_mul_f64 v[6:7], v[6:7], -2.0
	ds_write_b128 v15, v[4:7] offset:1536
.LBB0_17:
	s_or_b64 exec, exec, s[0:1]
	s_add_u32 s0, s4, 0xba0
	s_addc_u32 s1, s5, 0
	global_load_dwordx4 v[4:7], v19, s[0:1] offset:256
	global_load_dwordx4 v[22:25], v19, s[0:1] offset:512
	global_load_dwordx4 v[26:29], v19, s[0:1] offset:768
	global_load_dwordx4 v[30:33], v19, s[0:1] offset:1024
	ds_write_b128 v18, v[0:3]
	ds_read_b128 v[0:3], v18 offset:256
	ds_read_b128 v[34:37], v10 offset:2816
	global_load_dwordx4 v[38:41], v19, s[0:1] offset:1280
	s_mov_b32 s0, 0xe8584caa
	s_mov_b32 s1, 0x3febb67a
	;; [unrolled: 1-line block ×3, first 2 shown]
	s_waitcnt lgkmcnt(0)
	v_add_f64 v[8:9], v[0:1], v[34:35]
	v_add_f64 v[16:17], v[36:37], v[2:3]
	v_add_f64 v[42:43], v[0:1], -v[34:35]
	v_add_f64 v[0:1], v[2:3], -v[36:37]
	s_mov_b32 s2, s0
	s_waitcnt vmcnt(4)
	v_fma_f64 v[44:45], v[42:43], v[6:7], v[8:9]
	v_fma_f64 v[2:3], v[16:17], v[6:7], v[0:1]
	v_fma_f64 v[34:35], -v[42:43], v[6:7], v[8:9]
	v_fma_f64 v[36:37], v[16:17], v[6:7], -v[0:1]
	v_fma_f64 v[0:1], -v[16:17], v[4:5], v[44:45]
	v_fmac_f64_e32 v[2:3], v[42:43], v[4:5]
	v_fmac_f64_e32 v[34:35], v[16:17], v[4:5]
	;; [unrolled: 1-line block ×3, first 2 shown]
	ds_write_b128 v18, v[0:3] offset:256
	ds_write_b128 v10, v[34:37] offset:2816
	ds_read_b128 v[0:3], v18 offset:512
	ds_read_b128 v[4:7], v10 offset:2560
	s_waitcnt lgkmcnt(0)
	v_add_f64 v[8:9], v[0:1], v[4:5]
	v_add_f64 v[16:17], v[6:7], v[2:3]
	v_add_f64 v[34:35], v[0:1], -v[4:5]
	v_add_f64 v[0:1], v[2:3], -v[6:7]
	s_waitcnt vmcnt(3)
	v_fma_f64 v[36:37], v[34:35], v[24:25], v[8:9]
	v_fma_f64 v[2:3], v[16:17], v[24:25], v[0:1]
	v_fma_f64 v[4:5], -v[34:35], v[24:25], v[8:9]
	v_fma_f64 v[6:7], v[16:17], v[24:25], -v[0:1]
	v_fma_f64 v[0:1], -v[16:17], v[22:23], v[36:37]
	v_fmac_f64_e32 v[2:3], v[34:35], v[22:23]
	v_fmac_f64_e32 v[4:5], v[16:17], v[22:23]
	;; [unrolled: 1-line block ×3, first 2 shown]
	ds_write_b128 v18, v[0:3] offset:512
	ds_write_b128 v10, v[4:7] offset:2560
	ds_read_b128 v[0:3], v18 offset:768
	ds_read_b128 v[4:7], v10 offset:2304
	s_waitcnt lgkmcnt(0)
	v_add_f64 v[8:9], v[0:1], v[4:5]
	v_add_f64 v[16:17], v[6:7], v[2:3]
	v_add_f64 v[22:23], v[0:1], -v[4:5]
	v_add_f64 v[0:1], v[2:3], -v[6:7]
	s_waitcnt vmcnt(2)
	v_fma_f64 v[24:25], v[22:23], v[28:29], v[8:9]
	v_fma_f64 v[2:3], v[16:17], v[28:29], v[0:1]
	v_fma_f64 v[4:5], -v[22:23], v[28:29], v[8:9]
	v_fma_f64 v[6:7], v[16:17], v[28:29], -v[0:1]
	v_fma_f64 v[0:1], -v[16:17], v[26:27], v[24:25]
	v_fmac_f64_e32 v[2:3], v[22:23], v[26:27]
	v_fmac_f64_e32 v[4:5], v[16:17], v[26:27]
	;; [unrolled: 1-line block ×3, first 2 shown]
	ds_write_b128 v18, v[0:3] offset:768
	ds_write_b128 v10, v[4:7] offset:2304
	ds_read_b128 v[0:3], v18 offset:1024
	ds_read_b128 v[4:7], v10 offset:2048
	v_add3_u32 v22, 0, v19, v21
	s_waitcnt lgkmcnt(0)
	v_add_f64 v[8:9], v[0:1], v[4:5]
	v_add_f64 v[16:17], v[6:7], v[2:3]
	v_add_f64 v[24:25], v[0:1], -v[4:5]
	v_add_f64 v[0:1], v[2:3], -v[6:7]
	s_waitcnt vmcnt(1)
	v_fma_f64 v[26:27], v[24:25], v[32:33], v[8:9]
	v_fma_f64 v[2:3], v[16:17], v[32:33], v[0:1]
	v_fma_f64 v[4:5], -v[24:25], v[32:33], v[8:9]
	v_fma_f64 v[6:7], v[16:17], v[32:33], -v[0:1]
	v_fma_f64 v[0:1], -v[16:17], v[30:31], v[26:27]
	v_fmac_f64_e32 v[2:3], v[24:25], v[30:31]
	v_fmac_f64_e32 v[4:5], v[16:17], v[30:31]
	;; [unrolled: 1-line block ×3, first 2 shown]
	ds_write_b128 v18, v[0:3] offset:1024
	ds_write_b128 v10, v[4:7] offset:2048
	ds_read_b128 v[0:3], v18 offset:1280
	ds_read_b128 v[4:7], v10 offset:1792
	s_waitcnt lgkmcnt(0)
	v_add_f64 v[8:9], v[0:1], v[4:5]
	v_add_f64 v[16:17], v[6:7], v[2:3]
	v_add_f64 v[24:25], v[0:1], -v[4:5]
	v_add_f64 v[0:1], v[2:3], -v[6:7]
	s_waitcnt vmcnt(0)
	v_fma_f64 v[26:27], v[24:25], v[40:41], v[8:9]
	v_fma_f64 v[2:3], v[16:17], v[40:41], v[0:1]
	v_fma_f64 v[4:5], -v[24:25], v[40:41], v[8:9]
	v_fma_f64 v[6:7], v[16:17], v[40:41], -v[0:1]
	v_fma_f64 v[0:1], -v[16:17], v[38:39], v[26:27]
	v_fmac_f64_e32 v[2:3], v[24:25], v[38:39]
	v_fmac_f64_e32 v[4:5], v[16:17], v[38:39]
	;; [unrolled: 1-line block ×3, first 2 shown]
	ds_write_b128 v18, v[0:3] offset:1280
	ds_write_b128 v10, v[4:7] offset:1792
	s_waitcnt lgkmcnt(0)
	s_barrier
	s_barrier
	ds_read_b128 v[8:11], v22 offset:512
	ds_read_b128 v[24:27], v22 offset:768
	;; [unrolled: 1-line block ×6, first 2 shown]
	ds_read_b128 v[36:39], v18
	ds_read_b128 v[40:43], v22 offset:256
	ds_read_b128 v[44:47], v22 offset:1024
	;; [unrolled: 1-line block ×5, first 2 shown]
	s_waitcnt lgkmcnt(7)
	v_add_f64 v[60:61], v[28:29], v[4:5]
	v_add_f64 v[62:63], v[30:31], -v[6:7]
	v_add_f64 v[64:65], v[10:11], v[30:31]
	v_add_f64 v[30:31], v[30:31], v[6:7]
	;; [unrolled: 1-line block ×3, first 2 shown]
	v_add_f64 v[28:29], v[28:29], -v[4:5]
	v_fmac_f64_e32 v[8:9], -0.5, v[60:61]
	v_fmac_f64_e32 v[10:11], -0.5, v[30:31]
	v_fma_f64 v[60:61], s[0:1], v[62:63], v[8:9]
	v_fmac_f64_e32 v[8:9], s[2:3], v[62:63]
	v_fma_f64 v[62:63], s[2:3], v[28:29], v[10:11]
	v_fmac_f64_e32 v[10:11], s[0:1], v[28:29]
	s_waitcnt lgkmcnt(1)
	v_add_f64 v[68:69], v[44:45], v[52:53]
	v_mul_f64 v[30:31], v[10:11], -0.5
	v_add_f64 v[66:67], v[36:37], v[44:45]
	v_add_f64 v[70:71], v[46:47], -v[54:55]
	v_fmac_f64_e32 v[36:37], -0.5, v[68:69]
	v_mul_f64 v[28:29], v[8:9], -0.5
	v_fmac_f64_e32 v[30:31], s[2:3], v[8:9]
	v_add_f64 v[8:9], v[46:47], v[54:55]
	v_fma_f64 v[68:69], s[0:1], v[70:71], v[36:37]
	v_fmac_f64_e32 v[36:37], s[2:3], v[70:71]
	v_fmac_f64_e32 v[28:29], s[0:1], v[10:11]
	v_add_f64 v[70:71], v[38:39], v[46:47]
	v_fmac_f64_e32 v[38:39], -0.5, v[8:9]
	v_add_f64 v[8:9], v[44:45], -v[52:53]
	v_fma_f64 v[46:47], s[2:3], v[8:9], v[38:39]
	v_fmac_f64_e32 v[38:39], s[0:1], v[8:9]
	v_add_f64 v[8:9], v[36:37], v[28:29]
	v_add_f64 v[28:29], v[36:37], -v[28:29]
	v_add_f64 v[36:37], v[32:33], v[0:1]
	v_add_f64 v[72:73], v[24:25], v[32:33]
	v_fmac_f64_e32 v[24:25], -0.5, v[36:37]
	v_add_f64 v[36:37], v[34:35], -v[2:3]
	v_add_f64 v[76:77], v[26:27], v[34:35]
	v_add_f64 v[34:35], v[34:35], v[2:3]
	v_fmac_f64_e32 v[26:27], -0.5, v[34:35]
	v_add_f64 v[32:33], v[32:33], -v[0:1]
	v_fma_f64 v[78:79], s[2:3], v[32:33], v[26:27]
	v_fmac_f64_e32 v[26:27], s[0:1], v[32:33]
	v_fma_f64 v[74:75], s[0:1], v[36:37], v[24:25]
	v_fmac_f64_e32 v[24:25], s[2:3], v[36:37]
	v_mul_f64 v[34:35], v[26:27], -0.5
	v_mul_f64 v[32:33], v[24:25], -0.5
	v_fmac_f64_e32 v[34:35], s[2:3], v[24:25]
	s_waitcnt lgkmcnt(0)
	v_add_f64 v[24:25], v[48:49], v[56:57]
	v_add_f64 v[80:81], v[40:41], v[48:49]
	v_fmac_f64_e32 v[40:41], -0.5, v[24:25]
	v_add_f64 v[24:25], v[50:51], -v[58:59]
	v_fma_f64 v[82:83], s[0:1], v[24:25], v[40:41]
	v_fmac_f64_e32 v[40:41], s[2:3], v[24:25]
	v_add_f64 v[24:25], v[50:51], v[58:59]
	v_add_f64 v[36:37], v[66:67], v[52:53]
	;; [unrolled: 1-line block ×3, first 2 shown]
	v_fmac_f64_e32 v[32:33], s[0:1], v[26:27]
	v_add_f64 v[84:85], v[42:43], v[50:51]
	v_fmac_f64_e32 v[42:43], -0.5, v[24:25]
	v_add_f64 v[24:25], v[48:49], -v[56:57]
	v_add_f64 v[4:5], v[36:37], v[16:17]
	v_add_f64 v[36:37], v[36:37], -v[16:17]
	v_mul_f64 v[16:17], v[62:63], s[0:1]
	v_mul_f64 v[48:49], v[60:61], s[2:3]
	v_add_f64 v[10:11], v[38:39], v[30:31]
	v_add_f64 v[30:31], v[38:39], -v[30:31]
	v_fma_f64 v[86:87], s[2:3], v[24:25], v[42:43]
	v_fmac_f64_e32 v[42:43], s[0:1], v[24:25]
	v_add_f64 v[24:25], v[40:41], v[32:33]
	v_add_f64 v[32:33], v[40:41], -v[32:33]
	v_add_f64 v[38:39], v[70:71], v[54:55]
	v_add_f64 v[40:41], v[64:65], v[6:7]
	v_fmac_f64_e32 v[16:17], 0.5, v[60:61]
	v_fmac_f64_e32 v[48:49], 0.5, v[62:63]
	v_add_f64 v[26:27], v[42:43], v[34:35]
	v_add_f64 v[34:35], v[42:43], -v[34:35]
	v_add_f64 v[6:7], v[38:39], v[40:41]
	v_add_f64 v[38:39], v[38:39], -v[40:41]
	v_add_f64 v[40:41], v[68:69], v[16:17]
	v_add_f64 v[42:43], v[46:47], v[48:49]
	v_add_f64 v[44:45], v[68:69], -v[16:17]
	v_add_f64 v[46:47], v[46:47], -v[48:49]
	v_add_f64 v[16:17], v[80:81], v[56:57]
	v_add_f64 v[50:51], v[84:85], v[58:59]
	;; [unrolled: 1-line block ×3, first 2 shown]
	v_mul_f64 v[56:57], v[78:79], s[0:1]
	v_mul_f64 v[58:59], v[74:75], s[2:3]
	s_movk_i32 s0, 0x50
	v_add_f64 v[52:53], v[76:77], v[2:3]
	v_fmac_f64_e32 v[56:57], 0.5, v[74:75]
	v_fmac_f64_e32 v[58:59], 0.5, v[78:79]
	v_add_f64 v[0:1], v[16:17], v[48:49]
	v_add_f64 v[48:49], v[16:17], -v[48:49]
	v_mad_u32_u24 v16, v14, s0, v22
	v_add_f64 v[2:3], v[50:51], v[52:53]
	v_add_f64 v[50:51], v[50:51], -v[52:53]
	v_add_f64 v[52:53], v[82:83], v[56:57]
	v_add_f64 v[54:55], v[86:87], v[58:59]
	v_add_f64 v[56:57], v[82:83], -v[56:57]
	v_add_f64 v[58:59], v[86:87], -v[58:59]
	s_barrier
	ds_write_b128 v16, v[4:7]
	ds_write_b128 v16, v[40:43] offset:16
	ds_write_b128 v16, v[8:11] offset:32
	;; [unrolled: 1-line block ×11, first 2 shown]
	v_mul_lo_u16_e32 v25, 43, v14
	v_mov_b32_e32 v17, 6
	v_mul_lo_u16_sdwa v0, v25, v17 dst_sel:DWORD dst_unused:UNUSED_PAD src0_sel:BYTE_1 src1_sel:DWORD
	v_sub_u16_e32 v78, v14, v0
	v_mul_lo_u16_e32 v0, 3, v78
	v_mov_b32_e32 v79, 4
	v_lshlrev_b32_sdwa v8, v79, v0 dst_sel:DWORD dst_unused:UNUSED_PAD src0_sel:DWORD src1_sel:BYTE_0
	s_waitcnt lgkmcnt(0)
	s_barrier
	global_load_dwordx4 v[0:3], v8, s[4:5]
	global_load_dwordx4 v[4:7], v8, s[4:5] offset:16
	v_or_b32_e32 v24, 16, v14
	v_mul_lo_u16_e32 v80, 43, v24
	v_mul_lo_u16_sdwa v23, v80, v17 dst_sel:DWORD dst_unused:UNUSED_PAD src0_sel:BYTE_1 src1_sel:DWORD
	global_load_dwordx4 v[8:11], v8, s[4:5] offset:32
	v_sub_u16_e32 v81, v24, v23
	v_mul_lo_u16_e32 v23, 3, v81
	v_lshlrev_b32_sdwa v23, v79, v23 dst_sel:DWORD dst_unused:UNUSED_PAD src0_sel:DWORD src1_sel:BYTE_0
	global_load_dwordx4 v[26:29], v23, s[4:5]
	global_load_dwordx4 v[30:33], v23, s[4:5] offset:16
	global_load_dwordx4 v[34:37], v23, s[4:5] offset:32
	s_movk_i32 s0, 0xffb0
	v_mad_i32_i24 v23, v14, s0, v16
	v_or_b32_e32 v42, 32, v14
	ds_read_b128 v[38:41], v23 offset:768
	v_mul_lo_u16_e32 v82, 43, v42
	ds_read_b128 v[46:49], v22 offset:1536
	v_mul_lo_u16_sdwa v17, v82, v17 dst_sel:DWORD dst_unused:UNUSED_PAD src0_sel:BYTE_1 src1_sel:DWORD
	v_sub_u16_e32 v83, v42, v17
	v_mul_lo_u16_e32 v16, 3, v83
	v_lshlrev_b32_sdwa v68, v79, v16 dst_sel:DWORD dst_unused:UNUSED_PAD src0_sel:DWORD src1_sel:BYTE_0
	ds_read_b128 v[42:45], v23 offset:512
	v_cmp_gt_u32_e64 s[0:1], 24, v24
	s_waitcnt vmcnt(5) lgkmcnt(2)
	v_mul_f64 v[16:17], v[40:41], v[2:3]
	v_mul_f64 v[50:51], v[38:39], v[2:3]
	v_fma_f64 v[16:17], v[38:39], v[0:1], -v[16:17]
	v_fmac_f64_e32 v[50:51], v[40:41], v[0:1]
	ds_read_b128 v[0:3], v18
	s_waitcnt vmcnt(4) lgkmcnt(2)
	v_mul_f64 v[52:53], v[48:49], v[6:7]
	ds_read_b128 v[38:41], v22 offset:2304
	v_mul_f64 v[54:55], v[46:47], v[6:7]
	v_fma_f64 v[52:53], v[46:47], v[4:5], -v[52:53]
	v_fmac_f64_e32 v[54:55], v[48:49], v[4:5]
	ds_read_b128 v[4:7], v22 offset:2560
	ds_read_b128 v[46:49], v23 offset:1024
	s_waitcnt vmcnt(3) lgkmcnt(2)
	v_mul_f64 v[56:57], v[40:41], v[10:11]
	v_mul_f64 v[58:59], v[38:39], v[10:11]
	v_fma_f64 v[56:57], v[38:39], v[8:9], -v[56:57]
	v_fmac_f64_e32 v[58:59], v[40:41], v[8:9]
	ds_read_b128 v[8:11], v23 offset:1280
	s_waitcnt vmcnt(2) lgkmcnt(1)
	v_mul_f64 v[60:61], v[48:49], v[28:29]
	v_mul_f64 v[62:63], v[46:47], v[28:29]
	ds_read_b128 v[38:41], v22 offset:1792
	v_fma_f64 v[60:61], v[46:47], v[26:27], -v[60:61]
	v_fmac_f64_e32 v[62:63], v[48:49], v[26:27]
	ds_read_b128 v[26:29], v22 offset:2048
	global_load_dwordx4 v[46:49], v68, s[4:5]
	s_waitcnt vmcnt(2) lgkmcnt(1)
	v_mul_f64 v[64:65], v[40:41], v[32:33]
	v_mul_f64 v[66:67], v[38:39], v[32:33]
	v_fma_f64 v[64:65], v[38:39], v[30:31], -v[64:65]
	v_fmac_f64_e32 v[66:67], v[40:41], v[30:31]
	global_load_dwordx4 v[30:33], v68, s[4:5] offset:16
	global_load_dwordx4 v[38:41], v68, s[4:5] offset:32
	s_waitcnt vmcnt(3)
	v_mul_f64 v[68:69], v[6:7], v[36:37]
	v_fma_f64 v[68:69], v[4:5], v[34:35], -v[68:69]
	v_mul_f64 v[36:37], v[4:5], v[36:37]
	v_fmac_f64_e32 v[36:37], v[6:7], v[34:35]
	v_add_f64 v[34:35], v[62:63], -v[36:37]
	s_waitcnt vmcnt(2)
	v_mul_f64 v[4:5], v[10:11], v[48:49]
	v_fma_f64 v[70:71], v[8:9], v[46:47], -v[4:5]
	ds_read_b128 v[4:7], v22 offset:2816
	v_mul_f64 v[48:49], v[8:9], v[48:49]
	s_waitcnt vmcnt(1) lgkmcnt(1)
	v_mul_f64 v[8:9], v[28:29], v[32:33]
	v_fmac_f64_e32 v[48:49], v[10:11], v[46:47]
	v_fma_f64 v[46:47], v[26:27], v[30:31], -v[8:9]
	ds_read_b128 v[8:11], v23 offset:256
	v_mul_f64 v[72:73], v[26:27], v[32:33]
	s_waitcnt vmcnt(0) lgkmcnt(1)
	v_mul_f64 v[26:27], v[6:7], v[40:41]
	v_fmac_f64_e32 v[72:73], v[28:29], v[30:31]
	v_fma_f64 v[74:75], v[4:5], v[38:39], -v[26:27]
	v_add_f64 v[26:27], v[0:1], -v[52:53]
	v_add_f64 v[30:31], v[16:17], -v[56:57]
	;; [unrolled: 1-line block ×3, first 2 shown]
	v_mov_b32_e32 v58, 24
	v_mul_f64 v[76:77], v[4:5], v[40:41]
	v_add_f64 v[28:29], v[2:3], -v[54:55]
	v_fma_f64 v[4:5], v[0:1], 2.0, -v[26:27]
	v_fma_f64 v[0:1], v[16:17], 2.0, -v[30:31]
	v_mul_lo_u16_sdwa v16, v25, v58 dst_sel:DWORD dst_unused:UNUSED_PAD src0_sel:BYTE_1 src1_sel:DWORD
	v_fmac_f64_e32 v[76:77], v[6:7], v[38:39]
	v_fma_f64 v[6:7], v[2:3], 2.0, -v[28:29]
	v_fma_f64 v[2:3], v[50:51], 2.0, -v[32:33]
	v_or_b32_e32 v16, v16, v78
	v_add_f64 v[0:1], v[4:5], -v[0:1]
	v_add_f64 v[2:3], v[6:7], -v[2:3]
	v_lshlrev_b32_sdwa v16, v79, v16 dst_sel:DWORD dst_unused:UNUSED_PAD src0_sel:DWORD src1_sel:BYTE_0
	v_fma_f64 v[4:5], v[4:5], 2.0, -v[0:1]
	v_fma_f64 v[6:7], v[6:7], 2.0, -v[2:3]
	v_add3_u32 v25, 0, v16, v21
	s_waitcnt lgkmcnt(0)
	s_barrier
	ds_write_b128 v25, v[4:7]
	v_add_f64 v[4:5], v[26:27], -v[32:33]
	v_add_f64 v[6:7], v[28:29], v[30:31]
	v_fma_f64 v[26:27], v[26:27], 2.0, -v[4:5]
	v_fma_f64 v[28:29], v[28:29], 2.0, -v[6:7]
	v_add_f64 v[16:17], v[8:9], -v[64:65]
	v_add_f64 v[40:41], v[10:11], -v[66:67]
	;; [unrolled: 1-line block ×3, first 2 shown]
	ds_write_b128 v25, v[26:29] offset:96
	ds_write_b128 v25, v[0:3] offset:192
	;; [unrolled: 1-line block ×3, first 2 shown]
	v_mul_lo_u16_sdwa v0, v80, v58 dst_sel:DWORD dst_unused:UNUSED_PAD src0_sel:BYTE_1 src1_sel:DWORD
	v_fma_f64 v[30:31], v[8:9], 2.0, -v[16:17]
	v_fma_f64 v[32:33], v[10:11], 2.0, -v[40:41]
	;; [unrolled: 1-line block ×4, first 2 shown]
	v_or_b32_e32 v0, v0, v81
	v_add_f64 v[8:9], v[30:31], -v[8:9]
	v_add_f64 v[10:11], v[32:33], -v[10:11]
	v_lshlrev_b32_sdwa v0, v79, v0 dst_sel:DWORD dst_unused:UNUSED_PAD src0_sel:DWORD src1_sel:BYTE_0
	v_fma_f64 v[30:31], v[30:31], 2.0, -v[8:9]
	v_fma_f64 v[32:33], v[32:33], 2.0, -v[10:11]
	v_add_f64 v[34:35], v[16:17], -v[34:35]
	v_add_f64 v[36:37], v[40:41], v[38:39]
	v_add3_u32 v0, 0, v0, v21
	v_fma_f64 v[38:39], v[16:17], 2.0, -v[34:35]
	v_fma_f64 v[40:41], v[40:41], 2.0, -v[36:37]
	v_add_f64 v[16:17], v[42:43], -v[46:47]
	v_add_f64 v[56:57], v[44:45], -v[72:73]
	;; [unrolled: 1-line block ×4, first 2 shown]
	ds_write_b128 v0, v[30:33]
	ds_write_b128 v0, v[38:41] offset:96
	ds_write_b128 v0, v[8:11] offset:192
	;; [unrolled: 1-line block ×3, first 2 shown]
	v_mul_lo_u16_sdwa v0, v82, v58 dst_sel:DWORD dst_unused:UNUSED_PAD src0_sel:BYTE_1 src1_sel:DWORD
	v_fma_f64 v[46:47], v[42:43], 2.0, -v[16:17]
	v_fma_f64 v[50:51], v[44:45], 2.0, -v[56:57]
	;; [unrolled: 1-line block ×4, first 2 shown]
	v_or_b32_e32 v0, v0, v83
	v_add_f64 v[42:43], v[46:47], -v[42:43]
	v_add_f64 v[44:45], v[50:51], -v[44:45]
	v_lshlrev_b32_sdwa v0, v79, v0 dst_sel:DWORD dst_unused:UNUSED_PAD src0_sel:DWORD src1_sel:BYTE_0
	v_fma_f64 v[46:47], v[46:47], 2.0, -v[42:43]
	v_fma_f64 v[48:49], v[50:51], 2.0, -v[44:45]
	v_add_f64 v[50:51], v[16:17], -v[54:55]
	v_add_f64 v[52:53], v[56:57], v[52:53]
	v_add3_u32 v0, 0, v0, v21
	v_fma_f64 v[54:55], v[16:17], 2.0, -v[50:51]
	v_fma_f64 v[56:57], v[56:57], 2.0, -v[52:53]
	ds_write_b128 v0, v[46:49]
	ds_write_b128 v0, v[54:57] offset:96
	ds_write_b128 v0, v[42:45] offset:192
	;; [unrolled: 1-line block ×3, first 2 shown]
	v_mul_u32_u24_e32 v0, 3, v14
	v_lshlrev_b32_e32 v25, 4, v0
	s_waitcnt lgkmcnt(0)
	s_barrier
	global_load_dwordx4 v[8:11], v25, s[4:5] offset:288
	global_load_dwordx4 v[4:7], v25, s[4:5] offset:304
	;; [unrolled: 1-line block ×3, first 2 shown]
	v_add_u32_e32 v16, -8, v14
	v_cndmask_b32_e64 v86, v16, v24, s[0:1]
	v_mul_i32_i24_e32 v16, 3, v86
	v_mov_b32_e32 v17, 0
	v_lshl_add_u64 v[50:51], v[16:17], 4, s[4:5]
	global_load_dwordx4 v[26:29], v[50:51], off offset:288
	global_load_dwordx4 v[30:33], v[50:51], off offset:304
	;; [unrolled: 1-line block ×3, first 2 shown]
	global_load_dwordx4 v[38:41], v25, s[4:5] offset:672
	global_load_dwordx4 v[42:45], v25, s[4:5] offset:688
	;; [unrolled: 1-line block ×3, first 2 shown]
	ds_read_b128 v[50:53], v23 offset:768
	ds_read_b128 v[54:57], v23 offset:512
	;; [unrolled: 1-line block ×3, first 2 shown]
	v_cmp_lt_u32_e64 s[0:1], 23, v24
	v_add_u32_e32 v16, 0x800, v23
	s_waitcnt vmcnt(8) lgkmcnt(2)
	v_mul_f64 v[62:63], v[52:53], v[10:11]
	v_mul_f64 v[64:65], v[50:51], v[10:11]
	v_fma_f64 v[62:63], v[50:51], v[8:9], -v[62:63]
	v_fmac_f64_e32 v[64:65], v[52:53], v[8:9]
	ds_read_b128 v[8:11], v18
	ds_read_b128 v[50:53], v22 offset:2304
	s_waitcnt vmcnt(7) lgkmcnt(2)
	v_mul_f64 v[66:67], v[60:61], v[6:7]
	v_mul_f64 v[68:69], v[58:59], v[6:7]
	v_fma_f64 v[66:67], v[58:59], v[4:5], -v[66:67]
	v_fmac_f64_e32 v[68:69], v[60:61], v[4:5]
	ds_read_b128 v[4:7], v22 offset:2560
	ds_read_b128 v[58:61], v23 offset:1024
	s_waitcnt vmcnt(6) lgkmcnt(2)
	v_mul_f64 v[70:71], v[52:53], v[2:3]
	v_mul_f64 v[72:73], v[50:51], v[2:3]
	v_fma_f64 v[70:71], v[50:51], v[0:1], -v[70:71]
	v_fmac_f64_e32 v[72:73], v[52:53], v[0:1]
	ds_read_b128 v[0:3], v23 offset:1280
	ds_read_b128 v[50:53], v22 offset:1792
	s_waitcnt vmcnt(5) lgkmcnt(2)
	v_mul_f64 v[74:75], v[60:61], v[28:29]
	v_fma_f64 v[74:75], v[58:59], v[26:27], -v[74:75]
	v_mul_f64 v[58:59], v[58:59], v[28:29]
	v_fmac_f64_e32 v[58:59], v[60:61], v[26:27]
	ds_read_b128 v[26:29], v22 offset:2048
	s_waitcnt vmcnt(4) lgkmcnt(1)
	v_mul_f64 v[60:61], v[52:53], v[32:33]
	v_fma_f64 v[60:61], v[50:51], v[30:31], -v[60:61]
	v_mul_f64 v[50:51], v[50:51], v[32:33]
	v_fmac_f64_e32 v[50:51], v[52:53], v[30:31]
	s_waitcnt vmcnt(3)
	v_mul_f64 v[30:31], v[6:7], v[36:37]
	v_fma_f64 v[52:53], v[4:5], v[34:35], -v[30:31]
	v_mul_f64 v[36:37], v[4:5], v[36:37]
	s_waitcnt vmcnt(2)
	v_mul_f64 v[4:5], v[2:3], v[40:41]
	v_mul_f64 v[78:79], v[0:1], v[40:41]
	v_fma_f64 v[76:77], v[0:1], v[38:39], -v[4:5]
	v_fmac_f64_e32 v[78:79], v[2:3], v[38:39]
	ds_read_b128 v[0:3], v22 offset:2816
	s_waitcnt vmcnt(1) lgkmcnt(1)
	v_mul_f64 v[4:5], v[28:29], v[44:45]
	v_fmac_f64_e32 v[36:37], v[6:7], v[34:35]
	v_fma_f64 v[80:81], v[26:27], v[42:43], -v[4:5]
	ds_read_b128 v[4:7], v23 offset:256
	v_mul_f64 v[82:83], v[26:27], v[44:45]
	s_waitcnt vmcnt(0) lgkmcnt(1)
	v_mul_f64 v[26:27], v[2:3], v[48:49]
	v_fmac_f64_e32 v[82:83], v[28:29], v[42:43]
	v_fma_f64 v[84:85], v[0:1], v[46:47], -v[26:27]
	v_mul_f64 v[48:49], v[0:1], v[48:49]
	v_add_f64 v[30:31], v[8:9], -v[66:67]
	v_add_f64 v[32:33], v[10:11], -v[68:69]
	;; [unrolled: 1-line block ×4, first 2 shown]
	v_fmac_f64_e32 v[48:49], v[2:3], v[46:47]
	v_fma_f64 v[8:9], v[8:9], 2.0, -v[30:31]
	v_fma_f64 v[10:11], v[10:11], 2.0, -v[32:33]
	;; [unrolled: 1-line block ×4, first 2 shown]
	v_add_f64 v[0:1], v[8:9], -v[0:1]
	v_add_f64 v[2:3], v[10:11], -v[2:3]
	v_fma_f64 v[8:9], v[8:9], 2.0, -v[0:1]
	v_fma_f64 v[10:11], v[10:11], 2.0, -v[2:3]
	v_add_f64 v[26:27], v[30:31], -v[26:27]
	v_add_f64 v[28:29], v[32:33], v[28:29]
	v_fma_f64 v[30:31], v[30:31], 2.0, -v[26:27]
	v_fma_f64 v[32:33], v[32:33], 2.0, -v[28:29]
	s_waitcnt lgkmcnt(0)
	v_add_f64 v[44:45], v[6:7], -v[50:51]
	v_add_f64 v[46:47], v[58:59], -v[36:37]
	s_barrier
	ds_write_b128 v22, v[8:11]
	ds_write_b128 v22, v[30:33] offset:384
	ds_write_b128 v22, v[0:3] offset:768
	ds_write_b128 v22, v[26:29] offset:1152
	v_mov_b32_e32 v0, 0x60
	v_add_f64 v[42:43], v[4:5], -v[60:61]
	v_fma_f64 v[38:39], v[6:7], 2.0, -v[44:45]
	v_add_f64 v[40:41], v[74:75], -v[52:53]
	v_fma_f64 v[6:7], v[58:59], 2.0, -v[46:47]
	v_cndmask_b32_e64 v0, 0, v0, s[0:1]
	v_fma_f64 v[34:35], v[4:5], 2.0, -v[42:43]
	v_fma_f64 v[4:5], v[74:75], 2.0, -v[40:41]
	v_add_f64 v[6:7], v[38:39], -v[6:7]
	v_add_f64 v[58:59], v[54:55], -v[80:81]
	;; [unrolled: 1-line block ×5, first 2 shown]
	v_or_b32_e32 v0, v0, v86
	v_add_f64 v[4:5], v[34:35], -v[4:5]
	v_fma_f64 v[36:37], v[38:39], 2.0, -v[6:7]
	v_add_f64 v[38:39], v[42:43], -v[46:47]
	v_fma_f64 v[62:63], v[54:55], 2.0, -v[58:59]
	v_fma_f64 v[64:65], v[56:57], 2.0, -v[60:61]
	;; [unrolled: 1-line block ×4, first 2 shown]
	v_lshlrev_b32_e32 v0, 4, v0
	v_fma_f64 v[34:35], v[34:35], 2.0, -v[4:5]
	v_add_f64 v[40:41], v[44:45], v[40:41]
	v_add_f64 v[46:47], v[62:63], -v[46:47]
	v_add_f64 v[48:49], v[64:65], -v[48:49]
	v_add_f64 v[50:51], v[58:59], -v[50:51]
	v_add_f64 v[52:53], v[60:61], v[52:53]
	v_add3_u32 v0, 0, v0, v21
	v_fma_f64 v[42:43], v[42:43], 2.0, -v[38:39]
	v_fma_f64 v[44:45], v[44:45], 2.0, -v[40:41]
	;; [unrolled: 1-line block ×6, first 2 shown]
	ds_write_b128 v0, v[34:37]
	ds_write_b128 v0, v[42:45] offset:384
	ds_write_b128 v0, v[4:7] offset:768
	;; [unrolled: 1-line block ×3, first 2 shown]
	ds_write2_b64 v23, v[58:59], v[60:61] offset0:208 offset1:209
	ds_write_b128 v22, v[54:57] offset:2048
	ds_write_b128 v22, v[46:49] offset:2432
	;; [unrolled: 1-line block ×3, first 2 shown]
	s_waitcnt lgkmcnt(0)
	s_barrier
	global_load_dwordx4 v[0:3], v20, s[4:5] offset:1440
	global_load_dwordx4 v[4:7], v19, s[4:5] offset:1696
	;; [unrolled: 1-line block ×6, first 2 shown]
	ds_read_b128 v[36:39], v22 offset:1536
	ds_read_b128 v[18:21], v18
	ds_read_b128 v[40:43], v22 offset:1792
	ds_read_b128 v[44:47], v23 offset:256
	;; [unrolled: 1-line block ×3, first 2 shown]
	s_waitcnt vmcnt(5) lgkmcnt(4)
	v_mul_f64 v[52:53], v[38:39], v[2:3]
	v_mul_f64 v[54:55], v[36:37], v[2:3]
	v_fma_f64 v[52:53], v[36:37], v[0:1], -v[52:53]
	v_fmac_f64_e32 v[54:55], v[38:39], v[0:1]
	ds_read_b128 v[0:3], v22 offset:2048
	ds_read_b128 v[36:39], v22 offset:2304
	s_waitcnt vmcnt(4) lgkmcnt(4)
	v_mul_f64 v[56:57], v[42:43], v[6:7]
	v_fma_f64 v[56:57], v[40:41], v[4:5], -v[56:57]
	v_mul_f64 v[40:41], v[40:41], v[6:7]
	v_fmac_f64_e32 v[40:41], v[42:43], v[4:5]
	s_waitcnt vmcnt(3) lgkmcnt(1)
	v_mul_f64 v[4:5], v[2:3], v[10:11]
	v_mul_f64 v[58:59], v[0:1], v[10:11]
	v_fma_f64 v[42:43], v[0:1], v[8:9], -v[4:5]
	v_fmac_f64_e32 v[58:59], v[2:3], v[8:9]
	ds_read_b128 v[0:3], v22 offset:2560
	ds_read_b128 v[4:7], v22 offset:2816
	s_waitcnt vmcnt(2) lgkmcnt(2)
	v_mul_f64 v[8:9], v[38:39], v[26:27]
	v_fma_f64 v[60:61], v[36:37], v[24:25], -v[8:9]
	v_mul_f64 v[36:37], v[36:37], v[26:27]
	v_fmac_f64_e32 v[36:37], v[38:39], v[24:25]
	s_waitcnt vmcnt(1) lgkmcnt(1)
	v_mul_f64 v[8:9], v[2:3], v[30:31]
	v_mul_f64 v[62:63], v[0:1], v[30:31]
	s_waitcnt vmcnt(0) lgkmcnt(0)
	v_mul_f64 v[24:25], v[6:7], v[34:35]
	v_mul_f64 v[66:67], v[4:5], v[34:35]
	v_fma_f64 v[38:39], v[0:1], v[28:29], -v[8:9]
	v_fmac_f64_e32 v[62:63], v[2:3], v[28:29]
	ds_read_b128 v[0:3], v23 offset:768
	ds_read_b128 v[8:11], v23 offset:1024
	v_fma_f64 v[64:65], v[4:5], v[32:33], -v[24:25]
	v_fmac_f64_e32 v[66:67], v[6:7], v[32:33]
	ds_read_b128 v[4:7], v23 offset:1280
	v_add_f64 v[24:25], v[18:19], -v[52:53]
	v_add_f64 v[52:53], v[44:45], -v[56:57]
	;; [unrolled: 1-line block ×4, first 2 shown]
	v_fma_f64 v[28:29], v[44:45], 2.0, -v[52:53]
	v_add_f64 v[42:43], v[48:49], -v[42:43]
	v_add_f64 v[44:45], v[50:51], -v[58:59]
	v_fma_f64 v[18:19], v[18:19], 2.0, -v[24:25]
	v_fma_f64 v[20:21], v[20:21], 2.0, -v[26:27]
	;; [unrolled: 1-line block ×5, first 2 shown]
	s_waitcnt lgkmcnt(2)
	v_add_f64 v[46:47], v[0:1], -v[60:61]
	v_add_f64 v[36:37], v[2:3], -v[36:37]
	s_waitcnt lgkmcnt(1)
	v_add_f64 v[38:39], v[8:9], -v[38:39]
	v_add_f64 v[48:49], v[10:11], -v[62:63]
	;; [unrolled: 3-line block ×3, first 2 shown]
	v_fma_f64 v[0:1], v[0:1], 2.0, -v[46:47]
	v_fma_f64 v[2:3], v[2:3], 2.0, -v[36:37]
	;; [unrolled: 1-line block ×6, first 2 shown]
	s_barrier
	ds_write_b128 v22, v[18:21]
	ds_write_b128 v22, v[24:27] offset:1536
	ds_write_b128 v23, v[28:31] offset:256
	ds_write2_b64 v23, v[52:53], v[40:41] offset0:224 offset1:225
	ds_write_b128 v23, v[32:35] offset:512
	ds_write2_b64 v16, v[42:43], v[44:45] offset1:1
	ds_write_b128 v23, v[0:3] offset:768
	ds_write2_b64 v16, v[46:47], v[36:37] offset0:32 offset1:33
	ds_write_b128 v23, v[8:11] offset:1024
	ds_write2_b64 v16, v[38:39], v[48:49] offset0:64 offset1:65
	;; [unrolled: 2-line block ×3, first 2 shown]
	s_waitcnt lgkmcnt(0)
	s_barrier
	s_and_saveexec_b64 s[0:1], vcc
	s_cbranch_execz .LBB0_19
; %bb.18:
	v_lshl_add_u32 v10, v14, 4, v15
	ds_read_b128 v[0:3], v10
	ds_read_b128 v[4:7], v10 offset:256
	v_mov_b32_e32 v15, v17
	v_add_u32_e32 v16, 16, v14
	v_lshl_add_u64 v[8:9], v[14:15], 4, v[12:13]
	s_waitcnt lgkmcnt(1)
	global_store_dwordx4 v[8:9], v[0:3], off
	v_lshl_add_u64 v[8:9], v[16:17], 4, v[12:13]
	ds_read_b128 v[0:3], v10 offset:512
	s_waitcnt lgkmcnt(1)
	global_store_dwordx4 v[8:9], v[4:7], off
	ds_read_b128 v[4:7], v10 offset:768
	v_add_u32_e32 v16, 32, v14
	v_lshl_add_u64 v[8:9], v[16:17], 4, v[12:13]
	v_add_u32_e32 v16, 48, v14
	s_waitcnt lgkmcnt(1)
	global_store_dwordx4 v[8:9], v[0:3], off
	v_lshl_add_u64 v[8:9], v[16:17], 4, v[12:13]
	ds_read_b128 v[0:3], v10 offset:1024
	s_waitcnt lgkmcnt(1)
	global_store_dwordx4 v[8:9], v[4:7], off
	ds_read_b128 v[4:7], v10 offset:1280
	v_add_u32_e32 v16, 64, v14
	v_lshl_add_u64 v[8:9], v[16:17], 4, v[12:13]
	v_add_u32_e32 v16, 0x50, v14
	;; [unrolled: 10-line block ×5, first 2 shown]
	s_waitcnt lgkmcnt(1)
	global_store_dwordx4 v[8:9], v[0:3], off
	s_nop 1
	v_lshl_add_u64 v[0:1], v[16:17], 4, v[12:13]
	s_waitcnt lgkmcnt(0)
	global_store_dwordx4 v[0:1], v[4:7], off
.LBB0_19:
	s_endpgm
	.section	.rodata,"a",@progbits
	.p2align	6, 0x0
	.amdhsa_kernel fft_rtc_fwd_len192_factors_6_4_4_2_wgs_128_tpt_16_halfLds_dp_ip_CI_unitstride_sbrr_C2R_dirReg
		.amdhsa_group_segment_fixed_size 0
		.amdhsa_private_segment_fixed_size 0
		.amdhsa_kernarg_size 88
		.amdhsa_user_sgpr_count 2
		.amdhsa_user_sgpr_dispatch_ptr 0
		.amdhsa_user_sgpr_queue_ptr 0
		.amdhsa_user_sgpr_kernarg_segment_ptr 1
		.amdhsa_user_sgpr_dispatch_id 0
		.amdhsa_user_sgpr_kernarg_preload_length 0
		.amdhsa_user_sgpr_kernarg_preload_offset 0
		.amdhsa_user_sgpr_private_segment_size 0
		.amdhsa_uses_dynamic_stack 0
		.amdhsa_enable_private_segment 0
		.amdhsa_system_sgpr_workgroup_id_x 1
		.amdhsa_system_sgpr_workgroup_id_y 0
		.amdhsa_system_sgpr_workgroup_id_z 0
		.amdhsa_system_sgpr_workgroup_info 0
		.amdhsa_system_vgpr_workitem_id 0
		.amdhsa_next_free_vgpr 88
		.amdhsa_next_free_sgpr 22
		.amdhsa_accum_offset 88
		.amdhsa_reserve_vcc 1
		.amdhsa_float_round_mode_32 0
		.amdhsa_float_round_mode_16_64 0
		.amdhsa_float_denorm_mode_32 3
		.amdhsa_float_denorm_mode_16_64 3
		.amdhsa_dx10_clamp 1
		.amdhsa_ieee_mode 1
		.amdhsa_fp16_overflow 0
		.amdhsa_tg_split 0
		.amdhsa_exception_fp_ieee_invalid_op 0
		.amdhsa_exception_fp_denorm_src 0
		.amdhsa_exception_fp_ieee_div_zero 0
		.amdhsa_exception_fp_ieee_overflow 0
		.amdhsa_exception_fp_ieee_underflow 0
		.amdhsa_exception_fp_ieee_inexact 0
		.amdhsa_exception_int_div_zero 0
	.end_amdhsa_kernel
	.text
.Lfunc_end0:
	.size	fft_rtc_fwd_len192_factors_6_4_4_2_wgs_128_tpt_16_halfLds_dp_ip_CI_unitstride_sbrr_C2R_dirReg, .Lfunc_end0-fft_rtc_fwd_len192_factors_6_4_4_2_wgs_128_tpt_16_halfLds_dp_ip_CI_unitstride_sbrr_C2R_dirReg
                                        ; -- End function
	.section	.AMDGPU.csdata,"",@progbits
; Kernel info:
; codeLenInByte = 6684
; NumSgprs: 28
; NumVgprs: 88
; NumAgprs: 0
; TotalNumVgprs: 88
; ScratchSize: 0
; MemoryBound: 0
; FloatMode: 240
; IeeeMode: 1
; LDSByteSize: 0 bytes/workgroup (compile time only)
; SGPRBlocks: 3
; VGPRBlocks: 10
; NumSGPRsForWavesPerEU: 28
; NumVGPRsForWavesPerEU: 88
; AccumOffset: 88
; Occupancy: 5
; WaveLimiterHint : 1
; COMPUTE_PGM_RSRC2:SCRATCH_EN: 0
; COMPUTE_PGM_RSRC2:USER_SGPR: 2
; COMPUTE_PGM_RSRC2:TRAP_HANDLER: 0
; COMPUTE_PGM_RSRC2:TGID_X_EN: 1
; COMPUTE_PGM_RSRC2:TGID_Y_EN: 0
; COMPUTE_PGM_RSRC2:TGID_Z_EN: 0
; COMPUTE_PGM_RSRC2:TIDIG_COMP_CNT: 0
; COMPUTE_PGM_RSRC3_GFX90A:ACCUM_OFFSET: 21
; COMPUTE_PGM_RSRC3_GFX90A:TG_SPLIT: 0
	.text
	.p2alignl 6, 3212836864
	.fill 256, 4, 3212836864
	.type	__hip_cuid_778bc934b48fe7ee,@object ; @__hip_cuid_778bc934b48fe7ee
	.section	.bss,"aw",@nobits
	.globl	__hip_cuid_778bc934b48fe7ee
__hip_cuid_778bc934b48fe7ee:
	.byte	0                               ; 0x0
	.size	__hip_cuid_778bc934b48fe7ee, 1

	.ident	"AMD clang version 19.0.0git (https://github.com/RadeonOpenCompute/llvm-project roc-6.4.0 25133 c7fe45cf4b819c5991fe208aaa96edf142730f1d)"
	.section	".note.GNU-stack","",@progbits
	.addrsig
	.addrsig_sym __hip_cuid_778bc934b48fe7ee
	.amdgpu_metadata
---
amdhsa.kernels:
  - .agpr_count:     0
    .args:
      - .actual_access:  read_only
        .address_space:  global
        .offset:         0
        .size:           8
        .value_kind:     global_buffer
      - .offset:         8
        .size:           8
        .value_kind:     by_value
      - .actual_access:  read_only
        .address_space:  global
        .offset:         16
        .size:           8
        .value_kind:     global_buffer
      - .actual_access:  read_only
        .address_space:  global
        .offset:         24
        .size:           8
        .value_kind:     global_buffer
      - .offset:         32
        .size:           8
        .value_kind:     by_value
      - .actual_access:  read_only
        .address_space:  global
        .offset:         40
        .size:           8
        .value_kind:     global_buffer
      - .actual_access:  read_only
        .address_space:  global
        .offset:         48
        .size:           8
        .value_kind:     global_buffer
      - .offset:         56
        .size:           4
        .value_kind:     by_value
      - .actual_access:  read_only
        .address_space:  global
        .offset:         64
        .size:           8
        .value_kind:     global_buffer
      - .actual_access:  read_only
        .address_space:  global
        .offset:         72
        .size:           8
        .value_kind:     global_buffer
      - .address_space:  global
        .offset:         80
        .size:           8
        .value_kind:     global_buffer
    .group_segment_fixed_size: 0
    .kernarg_segment_align: 8
    .kernarg_segment_size: 88
    .language:       OpenCL C
    .language_version:
      - 2
      - 0
    .max_flat_workgroup_size: 128
    .name:           fft_rtc_fwd_len192_factors_6_4_4_2_wgs_128_tpt_16_halfLds_dp_ip_CI_unitstride_sbrr_C2R_dirReg
    .private_segment_fixed_size: 0
    .sgpr_count:     28
    .sgpr_spill_count: 0
    .symbol:         fft_rtc_fwd_len192_factors_6_4_4_2_wgs_128_tpt_16_halfLds_dp_ip_CI_unitstride_sbrr_C2R_dirReg.kd
    .uniform_work_group_size: 1
    .uses_dynamic_stack: false
    .vgpr_count:     88
    .vgpr_spill_count: 0
    .wavefront_size: 64
amdhsa.target:   amdgcn-amd-amdhsa--gfx950
amdhsa.version:
  - 1
  - 2
...

	.end_amdgpu_metadata
